;; amdgpu-corpus repo=ROCm/rocFFT kind=compiled arch=gfx906 opt=O3
	.text
	.amdgcn_target "amdgcn-amd-amdhsa--gfx906"
	.amdhsa_code_object_version 6
	.protected	fft_rtc_back_len112_factors_4_7_4_wgs_448_tpt_28_dp_op_CI_CI_sbrc_erc_z_xy_aligned ; -- Begin function fft_rtc_back_len112_factors_4_7_4_wgs_448_tpt_28_dp_op_CI_CI_sbrc_erc_z_xy_aligned
	.globl	fft_rtc_back_len112_factors_4_7_4_wgs_448_tpt_28_dp_op_CI_CI_sbrc_erc_z_xy_aligned
	.p2align	8
	.type	fft_rtc_back_len112_factors_4_7_4_wgs_448_tpt_28_dp_op_CI_CI_sbrc_erc_z_xy_aligned,@function
fft_rtc_back_len112_factors_4_7_4_wgs_448_tpt_28_dp_op_CI_CI_sbrc_erc_z_xy_aligned: ; @fft_rtc_back_len112_factors_4_7_4_wgs_448_tpt_28_dp_op_CI_CI_sbrc_erc_z_xy_aligned
; %bb.0:
	s_load_dwordx8 s[8:15], s[4:5], 0x0
	s_mov_b32 s7, 0
	v_mov_b32_e32 v10, 0
                                        ; implicit-def: $vgpr27_vgpr28
	s_waitcnt lgkmcnt(0)
	s_load_dwordx4 s[0:3], s[12:13], 0x8
	s_waitcnt lgkmcnt(0)
	s_add_i32 s0, s0, -1
	s_lshr_b32 s20, s0, 4
	s_add_i32 s21, s20, 1
	s_mul_i32 s22, s21, s2
	v_cvt_f32_u32_e32 v2, s22
	v_cvt_f32_u32_e32 v1, s21
	s_load_dwordx4 s[0:3], s[4:5], 0x58
	s_load_dwordx2 s[12:13], s[4:5], 0x20
	s_load_dwordx4 s[16:19], s[14:15], 0x0
	s_sub_i32 s5, 0, s22
	v_rcp_iflag_f32_e32 v2, v2
	v_rcp_iflag_f32_e32 v1, v1
	s_load_dword s4, s[14:15], 0x10
	v_mul_f32_e32 v2, 0x4f7ffffe, v2
	v_cvt_u32_f32_e32 v2, v2
	v_mul_f32_e32 v1, 0x4f7ffffe, v1
	v_cvt_u32_f32_e32 v1, v1
	v_readfirstlane_b32 s23, v2
	s_mul_i32 s5, s5, s23
	s_mul_hi_u32 s5, s23, s5
	s_add_i32 s23, s23, s5
	s_mul_hi_u32 s5, s6, s23
	s_mul_i32 s23, s5, s22
	s_sub_i32 s23, s6, s23
	s_add_i32 s24, s5, 1
	s_sub_i32 s25, s23, s22
	s_cmp_ge_u32 s23, s22
	s_cselect_b32 s5, s24, s5
	s_cselect_b32 s23, s25, s23
	s_add_i32 s24, s5, 1
	s_cmp_ge_u32 s23, s22
	s_waitcnt lgkmcnt(0)
	v_readfirstlane_b32 s19, v1
	s_cselect_b32 s30, s24, s5
	s_not_b32 s5, s20
	s_mul_i32 s5, s5, s19
	s_mul_i32 s20, s30, s22
	s_mul_hi_u32 s5, s19, s5
	s_sub_i32 s20, s6, s20
	s_add_i32 s19, s19, s5
	s_mul_hi_u32 s5, s20, s19
	s_mul_i32 s22, s5, s21
	s_sub_i32 s20, s20, s22
	s_add_i32 s22, s5, 1
	s_sub_i32 s23, s20, s21
	s_cmp_ge_u32 s20, s21
	s_cselect_b32 s5, s22, s5
	s_cselect_b32 s20, s23, s20
	s_add_i32 s22, s5, 1
	s_cmp_ge_u32 s20, s21
	s_cselect_b32 s31, s22, s5
	s_mul_hi_u32 s5, s6, s19
	s_mul_i32 s5, s5, s21
	s_sub_i32 s5, s6, s5
	s_sub_i32 s6, s5, s21
	s_cmp_ge_u32 s5, s21
	s_cselect_b32 s5, s6, s5
	s_sub_i32 s6, s5, s21
	s_cmp_ge_u32 s5, s21
	s_cselect_b32 s5, s6, s5
	s_lshl_b32 s33, s5, 4
	s_mul_i32 s4, s31, s4
	s_mul_i32 s5, s33, s18
	s_add_i32 s6, s5, s4
	s_lshl_b64 s[4:5], s[10:11], 3
	s_add_u32 s10, s14, s4
	v_mul_u32_u24_e32 v1, 0x24a, v0
	s_addc_u32 s11, s15, s5
	v_lshrrev_b32_e32 v21, 16, v1
	s_load_dwordx2 s[10:11], s[10:11], 0x0
	v_mul_lo_u16_e32 v1, 0x70, v21
	v_sub_u16_e32 v22, v0, v1
	v_mad_u64_u32 v[1:2], s[14:15], s16, v22, 0
	s_waitcnt lgkmcnt(0)
	s_mul_i32 s11, s11, s30
	s_mul_hi_u32 s14, s10, s30
	s_add_i32 s11, s14, s11
	v_mad_u64_u32 v[2:3], s[14:15], s17, v22, v[2:3]
	s_mul_i32 s10, s10, s30
	s_add_u32 s14, s12, s4
	s_addc_u32 s15, s13, s5
	s_lshl_b64 s[4:5], s[10:11], 4
	s_add_u32 s4, s0, s4
	v_mul_lo_u32 v9, s18, v21
	s_addc_u32 s5, s1, s5
	s_lshl_b64 s[0:1], s[6:7], 4
	s_add_u32 s0, s4, s0
	v_lshlrev_b64 v[1:2], 4, v[1:2]
	s_addc_u32 s1, s5, s1
	v_mov_b32_e32 v3, s1
	v_add_co_u32_e32 v15, vcc, s0, v1
	v_addc_co_u32_e32 v16, vcc, v3, v2, vcc
	v_lshlrev_b64 v[1:2], 4, v[9:10]
	s_lshl_b32 s0, s18, 2
	v_add_co_u32_e32 v11, vcc, v15, v1
	v_add_u32_e32 v9, s0, v9
	v_addc_co_u32_e32 v12, vcc, v16, v2, vcc
	v_lshlrev_b64 v[1:2], 4, v[9:10]
	v_add_u32_e32 v9, s0, v9
	v_add_co_u32_e32 v13, vcc, v15, v1
	v_addc_co_u32_e32 v14, vcc, v16, v2, vcc
	global_load_dwordx4 v[1:4], v[11:12], off
	global_load_dwordx4 v[5:8], v[13:14], off
	v_lshlrev_b64 v[11:12], 4, v[9:10]
	v_add_u32_e32 v9, s0, v9
	v_add_co_u32_e32 v17, vcc, v15, v11
	v_lshlrev_b64 v[9:10], 4, v[9:10]
	v_addc_co_u32_e32 v18, vcc, v16, v12, vcc
	v_add_co_u32_e32 v19, vcc, v15, v9
	v_addc_co_u32_e32 v20, vcc, v16, v10, vcc
	global_load_dwordx4 v[9:12], v[17:18], off
	global_load_dwordx4 v[13:16], v[19:20], off
	v_mov_b32_e32 v17, 15
	v_mov_b32_e32 v18, 28
	v_mul_u32_u24_e32 v19, 0x925, v0
	v_and_b32_sdwa v17, v19, v17 dst_sel:DWORD dst_unused:UNUSED_PAD src0_sel:WORD_1 src1_sel:DWORD
	v_mul_lo_u16_sdwa v18, v19, v18 dst_sel:DWORD dst_unused:UNUSED_PAD src0_sel:WORD_1 src1_sel:DWORD
	v_mul_lo_u16_e32 v17, 0x71, v17
	v_sub_u16_e32 v55, v0, v18
	v_mul_u32_u24_e32 v19, 0x710, v21
	v_lshlrev_b32_e32 v56, 4, v17
	v_lshlrev_b32_e32 v17, 4, v55
	v_lshlrev_b32_e32 v18, 4, v22
	v_add3_u32 v54, 0, v56, v17
	v_add3_u32 v53, 0, v17, v56
	;; [unrolled: 1-line block ×3, first 2 shown]
	s_load_dwordx4 s[4:7], s[12:13], 0x0
	s_load_dwordx2 s[0:1], s[12:13], 0x10
	s_load_dwordx2 s[10:11], s[14:15], 0x0
	v_cmp_gt_u16_e32 vcc, 16, v55
	s_waitcnt vmcnt(3)
	ds_write_b128 v17, v[1:4]
	s_waitcnt vmcnt(2)
	ds_write_b128 v17, v[5:8] offset:7232
	s_waitcnt vmcnt(1)
	ds_write_b128 v17, v[9:12] offset:14464
	;; [unrolled: 2-line block ×3, first 2 shown]
	s_waitcnt lgkmcnt(0)
	s_barrier
	ds_read_b128 v[1:4], v53 offset:896
	ds_read_b128 v[5:8], v54
	ds_read_b128 v[9:12], v53 offset:448
	ds_read_b128 v[13:16], v53 offset:1344
	s_waitcnt lgkmcnt(0)
	s_barrier
	v_add_f64 v[1:2], v[5:6], -v[1:2]
	v_add_f64 v[3:4], v[7:8], -v[3:4]
	;; [unrolled: 1-line block ×4, first 2 shown]
	v_fma_f64 v[21:22], v[5:6], 2.0, -v[1:2]
	v_fma_f64 v[23:24], v[7:8], 2.0, -v[3:4]
	;; [unrolled: 1-line block ×4, first 2 shown]
	v_add_f64 v[17:18], v[1:2], v[15:16]
	v_add_f64 v[19:20], v[3:4], -v[13:14]
	v_mad_u32_u24 v13, v55, 48, v53
                                        ; implicit-def: $vgpr15_vgpr16
	v_add_f64 v[9:10], v[21:22], -v[5:6]
	v_add_f64 v[11:12], v[23:24], -v[7:8]
	v_fma_f64 v[5:6], v[1:2], 2.0, -v[17:18]
	v_fma_f64 v[7:8], v[3:4], 2.0, -v[19:20]
	;; [unrolled: 1-line block ×4, first 2 shown]
	ds_write_b128 v13, v[17:20] offset:48
	ds_write_b128 v13, v[5:8] offset:16
	;; [unrolled: 1-line block ×3, first 2 shown]
	ds_write_b128 v13, v[1:4]
	s_waitcnt lgkmcnt(0)
	s_barrier
	s_waitcnt lgkmcnt(0)
                                        ; implicit-def: $vgpr23_vgpr24
	s_and_saveexec_b64 s[12:13], vcc
	s_cbranch_execz .LBB0_2
; %bb.1:
	ds_read_b128 v[1:4], v54
	ds_read_b128 v[5:8], v53 offset:256
	ds_read_b128 v[9:12], v53 offset:512
	;; [unrolled: 1-line block ×6, first 2 shown]
.LBB0_2:
	s_or_b64 exec, exec, s[12:13]
	s_waitcnt lgkmcnt(0)
	s_barrier
	s_and_saveexec_b64 s[12:13], vcc
	s_cbranch_execz .LBB0_4
; %bb.3:
	v_and_b32_e32 v57, 3, v55
	v_mul_u32_u24_e32 v29, 6, v57
	v_lshlrev_b32_e32 v58, 4, v29
	global_load_dwordx4 v[29:32], v58, s[8:9] offset:32
	global_load_dwordx4 v[45:48], v58, s[8:9] offset:16
	;; [unrolled: 1-line block ×3, first 2 shown]
	global_load_dwordx4 v[33:36], v58, s[8:9]
	global_load_dwordx4 v[37:40], v58, s[8:9] offset:80
	global_load_dwordx4 v[41:44], v58, s[8:9] offset:48
	s_mov_b32 s20, 0x37e14327
	s_mov_b32 s24, 0xe976ee23
	;; [unrolled: 1-line block ×16, first 2 shown]
	s_waitcnt vmcnt(5)
	v_mul_f64 v[58:59], v[19:20], v[31:32]
	v_mul_f64 v[31:32], v[17:18], v[31:32]
	v_fma_f64 v[17:18], v[17:18], v[29:30], v[58:59]
	v_fma_f64 v[19:20], v[19:20], v[29:30], -v[31:32]
	s_waitcnt vmcnt(4)
	v_mul_f64 v[29:30], v[11:12], v[47:48]
	v_mul_f64 v[31:32], v[9:10], v[47:48]
	s_waitcnt vmcnt(3)
	v_mul_f64 v[47:48], v[27:28], v[51:52]
	v_mul_f64 v[51:52], v[25:26], v[51:52]
	v_fma_f64 v[9:10], v[9:10], v[45:46], v[29:30]
	v_fma_f64 v[11:12], v[11:12], v[45:46], -v[31:32]
	s_waitcnt vmcnt(2)
	v_mul_f64 v[29:30], v[7:8], v[35:36]
	v_mul_f64 v[31:32], v[5:6], v[35:36]
	s_waitcnt vmcnt(1)
	v_mul_f64 v[35:36], v[21:22], v[39:40]
	v_mul_f64 v[39:40], v[23:24], v[39:40]
	s_waitcnt vmcnt(0)
	v_mul_f64 v[45:46], v[13:14], v[43:44]
	v_fma_f64 v[25:26], v[25:26], v[49:50], v[47:48]
	v_fma_f64 v[27:28], v[27:28], v[49:50], -v[51:52]
	v_mul_f64 v[43:44], v[15:16], v[43:44]
	v_fma_f64 v[5:6], v[5:6], v[33:34], v[29:30]
	v_fma_f64 v[7:8], v[7:8], v[33:34], -v[31:32]
	v_fma_f64 v[23:24], v[23:24], v[37:38], -v[35:36]
	v_fma_f64 v[21:22], v[21:22], v[37:38], v[39:40]
	v_lshrrev_b32_e32 v47, 2, v55
	v_mul_u32_u24_e32 v47, 28, v47
	v_or_b32_e32 v29, v47, v57
	v_fma_f64 v[15:16], v[15:16], v[41:42], -v[45:46]
	v_fma_f64 v[13:14], v[13:14], v[41:42], v[43:44]
	v_lshlrev_b32_e32 v47, 4, v29
	v_add_f64 v[29:30], v[11:12], v[27:28]
	v_add_f64 v[31:32], v[7:8], v[23:24]
	;; [unrolled: 1-line block ×4, first 2 shown]
	v_add_f64 v[9:10], v[9:10], -v[25:26]
	v_add_f64 v[33:34], v[19:20], v[15:16]
	v_add_f64 v[39:40], v[17:18], v[13:14]
	v_add_f64 v[13:14], v[13:14], -v[17:18]
	v_add_f64 v[15:16], v[15:16], -v[19:20]
	;; [unrolled: 1-line block ×3, first 2 shown]
	v_add_f64 v[17:18], v[29:30], v[31:32]
	v_add_f64 v[19:20], v[35:36], v[37:38]
	v_add_f64 v[5:6], v[5:6], -v[21:22]
	v_add_f64 v[7:8], v[7:8], -v[23:24]
	;; [unrolled: 1-line block ×8, first 2 shown]
	v_add_f64 v[17:18], v[33:34], v[17:18]
	v_add_f64 v[19:20], v[39:40], v[19:20]
	v_add_f64 v[21:22], v[33:34], -v[29:30]
	v_add_f64 v[29:30], v[39:40], -v[35:36]
	v_add_f64 v[35:36], v[13:14], v[9:10]
	v_add_f64 v[9:10], v[9:10], -v[5:6]
	v_add_f64 v[41:42], v[15:16], v[11:12]
	v_add_f64 v[11:12], v[11:12], -v[7:8]
	v_add_f64 v[13:14], v[5:6], -v[13:14]
	;; [unrolled: 1-line block ×3, first 2 shown]
	v_mul_f64 v[23:24], v[23:24], s[20:21]
	v_mul_f64 v[27:28], v[27:28], s[20:21]
	;; [unrolled: 1-line block ×4, first 2 shown]
	v_add_f64 v[3:4], v[3:4], v[17:18]
	v_add_f64 v[1:2], v[1:2], v[19:20]
	;; [unrolled: 1-line block ×4, first 2 shown]
	v_mul_f64 v[33:34], v[21:22], s[16:17]
	v_mul_f64 v[35:36], v[29:30], s[16:17]
	;; [unrolled: 1-line block ×4, first 2 shown]
	v_fma_f64 v[21:22], v[21:22], s[16:17], v[23:24]
	v_fma_f64 v[23:24], v[25:26], s[14:15], -v[23:24]
	v_fma_f64 v[45:46], v[31:32], s[14:15], -v[27:28]
	s_mov_b32 s15, 0x3fe77f67
	v_fma_f64 v[27:28], v[29:30], s[16:17], v[27:28]
	v_fma_f64 v[9:10], v[9:10], s[22:23], -v[37:38]
	v_fma_f64 v[29:30], v[13:14], s[18:19], v[37:38]
	v_fma_f64 v[37:38], v[15:16], s[18:19], v[39:40]
	s_mov_b32 s19, 0x3fd5d0dc
	v_fma_f64 v[17:18], v[17:18], s[28:29], v[3:4]
	v_fma_f64 v[19:20], v[19:20], s[28:29], v[1:2]
	v_fma_f64 v[11:12], v[11:12], s[22:23], -v[39:40]
	v_fma_f64 v[25:26], v[25:26], s[14:15], -v[33:34]
	;; [unrolled: 1-line block ×5, first 2 shown]
	v_fma_f64 v[29:30], v[5:6], s[26:27], v[29:30]
	v_fma_f64 v[35:36], v[7:8], s[26:27], v[37:38]
	v_add_f64 v[39:40], v[21:22], v[17:18]
	v_add_f64 v[41:42], v[27:28], v[19:20]
	v_fma_f64 v[33:34], v[7:8], s[26:27], v[11:12]
	v_add_f64 v[11:12], v[25:26], v[17:18]
	v_add_f64 v[25:26], v[31:32], v[19:20]
	v_fma_f64 v[31:32], v[5:6], s[26:27], v[13:14]
	v_fma_f64 v[37:38], v[7:8], s[26:27], v[15:16]
	v_add_f64 v[23:24], v[23:24], v[17:18]
	v_add_f64 v[21:22], v[45:46], v[19:20]
	v_fma_f64 v[9:10], v[5:6], s[26:27], v[9:10]
	v_add_f64 v[19:20], v[39:40], -v[29:30]
	v_add_f64 v[17:18], v[35:36], v[41:42]
	v_add_f64 v[5:6], v[33:34], v[25:26]
	;; [unrolled: 1-line block ×3, first 2 shown]
	v_add3_u32 v29, 0, v47, v56
	v_add_f64 v[15:16], v[23:24], -v[31:32]
	v_add_f64 v[13:14], v[37:38], v[21:22]
	v_add_f64 v[7:8], v[11:12], -v[9:10]
	v_add_f64 v[11:12], v[9:10], v[11:12]
	;; [unrolled: 2-line block ×3, first 2 shown]
	v_add_f64 v[21:22], v[21:22], -v[37:38]
	v_add_f64 v[25:26], v[41:42], -v[35:36]
	ds_write_b128 v29, v[1:4]
	ds_write_b128 v29, v[17:20] offset:64
	ds_write_b128 v29, v[13:16] offset:128
	ds_write_b128 v29, v[9:12] offset:192
	ds_write_b128 v29, v[5:8] offset:256
	ds_write_b128 v29, v[21:24] offset:320
	ds_write_b128 v29, v[25:28] offset:384
.LBB0_4:
	s_or_b64 exec, exec, s[12:13]
	v_mul_u32_u24_e32 v1, 3, v55
	v_lshlrev_b32_e32 v1, 4, v1
	s_waitcnt lgkmcnt(0)
	s_barrier
	global_load_dwordx4 v[2:5], v1, s[8:9] offset:384
	global_load_dwordx4 v[6:9], v1, s[8:9] offset:400
	;; [unrolled: 1-line block ×3, first 2 shown]
	ds_read_b128 v[14:17], v54
	ds_read_b128 v[18:21], v53 offset:448
	ds_read_b128 v[22:25], v53 offset:896
	;; [unrolled: 1-line block ×3, first 2 shown]
	v_lshrrev_b32_e32 v1, 4, v0
	v_mul_lo_u32 v30, v1, s0
	s_mul_i32 s1, s5, s33
	s_mul_hi_u32 s9, s4, s33
	s_mul_i32 s11, s11, s30
	s_mul_hi_u32 s14, s10, s30
	v_and_b32_e32 v36, 15, v0
	s_mul_i32 s8, s10, s30
	s_movk_i32 s15, 0x710
	s_add_i32 s13, s9, s1
	s_add_i32 s9, s14, s11
	v_mad_u64_u32 v[32:33], s[10:11], s4, v36, 0
	v_mov_b32_e32 v31, 0
	v_and_b32_e32 v34, 0x1f0, v0
	v_mad_u32_u24 v1, v36, s15, 0
	v_add_u32_e32 v47, v1, v34
	v_lshlrev_b64 v[34:35], 4, v[30:31]
	s_mul_i32 s12, s4, s33
	s_lshl_b64 s[10:11], s[12:13], 4
	v_mad_u64_u32 v[36:37], s[4:5], s5, v36, v[33:34]
	s_mul_i32 s6, s31, s6
	s_mov_b32 s7, 0
	s_add_u32 s1, s2, s10
	s_addc_u32 s10, s3, s11
	s_lshl_b64 s[2:3], s[6:7], 4
	s_add_u32 s1, s1, s2
	s_addc_u32 s4, s10, s3
	s_lshl_b64 s[2:3], s[8:9], 4
	v_mov_b32_e32 v33, v36
	s_add_u32 s1, s1, s2
	s_addc_u32 s2, s4, s3
	s_mul_i32 s16, s0, 28
	v_add_u32_e32 v30, s16, v30
	v_lshlrev_b64 v[37:38], 4, v[30:31]
	v_add_u32_e32 v30, s16, v30
	v_lshlrev_b64 v[39:40], 4, v[30:31]
	v_add_u32_e32 v30, s16, v30
	s_waitcnt vmcnt(0) lgkmcnt(0)
	s_barrier
	v_mul_f64 v[41:42], v[20:21], v[4:5]
	v_mul_f64 v[4:5], v[18:19], v[4:5]
	;; [unrolled: 1-line block ×6, first 2 shown]
	v_fma_f64 v[18:19], v[18:19], v[2:3], v[41:42]
	v_fma_f64 v[4:5], v[20:21], v[2:3], -v[4:5]
	v_fma_f64 v[2:3], v[22:23], v[6:7], v[43:44]
	v_fma_f64 v[6:7], v[24:25], v[6:7], -v[8:9]
	;; [unrolled: 2-line block ×3, first 2 shown]
	v_lshlrev_b64 v[12:13], 4, v[32:33]
	v_mov_b32_e32 v26, s2
	v_lshlrev_b64 v[20:21], 4, v[30:31]
	v_add_f64 v[22:23], v[14:15], -v[2:3]
	v_add_f64 v[24:25], v[16:17], -v[6:7]
	;; [unrolled: 1-line block ×4, first 2 shown]
	v_add_co_u32_e32 v2, vcc, s1, v12
	v_addc_co_u32_e32 v3, vcc, v26, v13, vcc
	v_fma_f64 v[26:27], v[14:15], 2.0, -v[22:23]
	v_fma_f64 v[28:29], v[16:17], 2.0, -v[24:25]
	;; [unrolled: 1-line block ×4, first 2 shown]
	v_add_f64 v[4:5], v[22:23], v[8:9]
	v_add_f64 v[6:7], v[24:25], -v[6:7]
	v_add_co_u32_e32 v30, vcc, v2, v34
	v_addc_co_u32_e32 v31, vcc, v3, v35, vcc
	v_add_f64 v[8:9], v[26:27], -v[10:11]
	v_add_f64 v[10:11], v[28:29], -v[12:13]
	v_fma_f64 v[12:13], v[22:23], 2.0, -v[4:5]
	v_fma_f64 v[14:15], v[24:25], 2.0, -v[6:7]
	v_add_co_u32_e32 v32, vcc, v2, v37
	v_addc_co_u32_e32 v33, vcc, v3, v38, vcc
	v_fma_f64 v[16:17], v[26:27], 2.0, -v[8:9]
	v_fma_f64 v[18:19], v[28:29], 2.0, -v[10:11]
	v_add_co_u32_e32 v22, vcc, v2, v39
	ds_write_b128 v53, v[4:7] offset:1344
	ds_write_b128 v53, v[12:15] offset:448
	;; [unrolled: 1-line block ×3, first 2 shown]
	ds_write_b128 v53, v[16:19]
	s_waitcnt lgkmcnt(0)
	s_barrier
	ds_read_b128 v[4:7], v47
	ds_read_b128 v[8:11], v47 offset:448
	ds_read_b128 v[12:15], v47 offset:896
	;; [unrolled: 1-line block ×3, first 2 shown]
	v_addc_co_u32_e32 v23, vcc, v3, v40, vcc
	v_add_co_u32_e32 v20, vcc, v2, v20
	v_addc_co_u32_e32 v21, vcc, v3, v21, vcc
	v_cmp_gt_u32_e32 vcc, 16, v0
	s_waitcnt lgkmcnt(3)
	global_store_dwordx4 v[30:31], v[4:7], off
	s_waitcnt lgkmcnt(2)
	global_store_dwordx4 v[32:33], v[8:11], off
	;; [unrolled: 2-line block ×4, first 2 shown]
	s_and_saveexec_b64 s[2:3], vcc
	s_cbranch_execz .LBB0_6
; %bb.5:
	ds_read_b128 v[4:7], v1 offset:1792
	s_mul_i32 s6, s0, 0x70
	s_lshl_b64 s[0:1], s[6:7], 4
	v_mov_b32_e32 v1, s1
	v_add_co_u32_e32 v0, vcc, s0, v2
	v_addc_co_u32_e32 v1, vcc, v3, v1, vcc
	s_waitcnt lgkmcnt(0)
	global_store_dwordx4 v[0:1], v[4:7], off
.LBB0_6:
	s_endpgm
	.section	.rodata,"a",@progbits
	.p2align	6, 0x0
	.amdhsa_kernel fft_rtc_back_len112_factors_4_7_4_wgs_448_tpt_28_dp_op_CI_CI_sbrc_erc_z_xy_aligned
		.amdhsa_group_segment_fixed_size 0
		.amdhsa_private_segment_fixed_size 0
		.amdhsa_kernarg_size 104
		.amdhsa_user_sgpr_count 6
		.amdhsa_user_sgpr_private_segment_buffer 1
		.amdhsa_user_sgpr_dispatch_ptr 0
		.amdhsa_user_sgpr_queue_ptr 0
		.amdhsa_user_sgpr_kernarg_segment_ptr 1
		.amdhsa_user_sgpr_dispatch_id 0
		.amdhsa_user_sgpr_flat_scratch_init 0
		.amdhsa_user_sgpr_private_segment_size 0
		.amdhsa_uses_dynamic_stack 0
		.amdhsa_system_sgpr_private_segment_wavefront_offset 0
		.amdhsa_system_sgpr_workgroup_id_x 1
		.amdhsa_system_sgpr_workgroup_id_y 0
		.amdhsa_system_sgpr_workgroup_id_z 0
		.amdhsa_system_sgpr_workgroup_info 0
		.amdhsa_system_vgpr_workitem_id 0
		.amdhsa_next_free_vgpr 60
		.amdhsa_next_free_sgpr 34
		.amdhsa_reserve_vcc 1
		.amdhsa_reserve_flat_scratch 0
		.amdhsa_float_round_mode_32 0
		.amdhsa_float_round_mode_16_64 0
		.amdhsa_float_denorm_mode_32 3
		.amdhsa_float_denorm_mode_16_64 3
		.amdhsa_dx10_clamp 1
		.amdhsa_ieee_mode 1
		.amdhsa_fp16_overflow 0
		.amdhsa_exception_fp_ieee_invalid_op 0
		.amdhsa_exception_fp_denorm_src 0
		.amdhsa_exception_fp_ieee_div_zero 0
		.amdhsa_exception_fp_ieee_overflow 0
		.amdhsa_exception_fp_ieee_underflow 0
		.amdhsa_exception_fp_ieee_inexact 0
		.amdhsa_exception_int_div_zero 0
	.end_amdhsa_kernel
	.text
.Lfunc_end0:
	.size	fft_rtc_back_len112_factors_4_7_4_wgs_448_tpt_28_dp_op_CI_CI_sbrc_erc_z_xy_aligned, .Lfunc_end0-fft_rtc_back_len112_factors_4_7_4_wgs_448_tpt_28_dp_op_CI_CI_sbrc_erc_z_xy_aligned
                                        ; -- End function
	.section	.AMDGPU.csdata,"",@progbits
; Kernel info:
; codeLenInByte = 2908
; NumSgprs: 38
; NumVgprs: 60
; ScratchSize: 0
; MemoryBound: 0
; FloatMode: 240
; IeeeMode: 1
; LDSByteSize: 0 bytes/workgroup (compile time only)
; SGPRBlocks: 4
; VGPRBlocks: 14
; NumSGPRsForWavesPerEU: 38
; NumVGPRsForWavesPerEU: 60
; Occupancy: 4
; WaveLimiterHint : 1
; COMPUTE_PGM_RSRC2:SCRATCH_EN: 0
; COMPUTE_PGM_RSRC2:USER_SGPR: 6
; COMPUTE_PGM_RSRC2:TRAP_HANDLER: 0
; COMPUTE_PGM_RSRC2:TGID_X_EN: 1
; COMPUTE_PGM_RSRC2:TGID_Y_EN: 0
; COMPUTE_PGM_RSRC2:TGID_Z_EN: 0
; COMPUTE_PGM_RSRC2:TIDIG_COMP_CNT: 0
	.type	__hip_cuid_90b581c191c61e1f,@object ; @__hip_cuid_90b581c191c61e1f
	.section	.bss,"aw",@nobits
	.globl	__hip_cuid_90b581c191c61e1f
__hip_cuid_90b581c191c61e1f:
	.byte	0                               ; 0x0
	.size	__hip_cuid_90b581c191c61e1f, 1

	.ident	"AMD clang version 19.0.0git (https://github.com/RadeonOpenCompute/llvm-project roc-6.4.0 25133 c7fe45cf4b819c5991fe208aaa96edf142730f1d)"
	.section	".note.GNU-stack","",@progbits
	.addrsig
	.addrsig_sym __hip_cuid_90b581c191c61e1f
	.amdgpu_metadata
---
amdhsa.kernels:
  - .args:
      - .actual_access:  read_only
        .address_space:  global
        .offset:         0
        .size:           8
        .value_kind:     global_buffer
      - .offset:         8
        .size:           8
        .value_kind:     by_value
      - .actual_access:  read_only
        .address_space:  global
        .offset:         16
        .size:           8
        .value_kind:     global_buffer
      - .actual_access:  read_only
        .address_space:  global
        .offset:         24
        .size:           8
        .value_kind:     global_buffer
      - .actual_access:  read_only
        .address_space:  global
        .offset:         32
        .size:           8
        .value_kind:     global_buffer
      - .offset:         40
        .size:           8
        .value_kind:     by_value
      - .actual_access:  read_only
        .address_space:  global
        .offset:         48
        .size:           8
        .value_kind:     global_buffer
      - .actual_access:  read_only
        .address_space:  global
        .offset:         56
        .size:           8
        .value_kind:     global_buffer
      - .offset:         64
        .size:           4
        .value_kind:     by_value
      - .actual_access:  read_only
        .address_space:  global
        .offset:         72
        .size:           8
        .value_kind:     global_buffer
      - .actual_access:  read_only
        .address_space:  global
        .offset:         80
        .size:           8
        .value_kind:     global_buffer
      - .actual_access:  read_only
        .address_space:  global
        .offset:         88
        .size:           8
        .value_kind:     global_buffer
      - .actual_access:  write_only
        .address_space:  global
        .offset:         96
        .size:           8
        .value_kind:     global_buffer
    .group_segment_fixed_size: 0
    .kernarg_segment_align: 8
    .kernarg_segment_size: 104
    .language:       OpenCL C
    .language_version:
      - 2
      - 0
    .max_flat_workgroup_size: 448
    .name:           fft_rtc_back_len112_factors_4_7_4_wgs_448_tpt_28_dp_op_CI_CI_sbrc_erc_z_xy_aligned
    .private_segment_fixed_size: 0
    .sgpr_count:     38
    .sgpr_spill_count: 0
    .symbol:         fft_rtc_back_len112_factors_4_7_4_wgs_448_tpt_28_dp_op_CI_CI_sbrc_erc_z_xy_aligned.kd
    .uniform_work_group_size: 1
    .uses_dynamic_stack: false
    .vgpr_count:     60
    .vgpr_spill_count: 0
    .wavefront_size: 64
amdhsa.target:   amdgcn-amd-amdhsa--gfx906
amdhsa.version:
  - 1
  - 2
...

	.end_amdgpu_metadata
